;; amdgpu-corpus repo=ROCm/rocFFT kind=compiled arch=gfx906 opt=O3
	.text
	.amdgcn_target "amdgcn-amd-amdhsa--gfx906"
	.amdhsa_code_object_version 6
	.protected	fft_rtc_fwd_len2500_factors_10_5_10_5_wgs_250_tpt_250_halfLds_sp_op_CI_CI_unitstride_sbrr_dirReg ; -- Begin function fft_rtc_fwd_len2500_factors_10_5_10_5_wgs_250_tpt_250_halfLds_sp_op_CI_CI_unitstride_sbrr_dirReg
	.globl	fft_rtc_fwd_len2500_factors_10_5_10_5_wgs_250_tpt_250_halfLds_sp_op_CI_CI_unitstride_sbrr_dirReg
	.p2align	8
	.type	fft_rtc_fwd_len2500_factors_10_5_10_5_wgs_250_tpt_250_halfLds_sp_op_CI_CI_unitstride_sbrr_dirReg,@function
fft_rtc_fwd_len2500_factors_10_5_10_5_wgs_250_tpt_250_halfLds_sp_op_CI_CI_unitstride_sbrr_dirReg: ; @fft_rtc_fwd_len2500_factors_10_5_10_5_wgs_250_tpt_250_halfLds_sp_op_CI_CI_unitstride_sbrr_dirReg
; %bb.0:
	s_load_dwordx4 s[8:11], s[4:5], 0x58
	s_load_dwordx4 s[12:15], s[4:5], 0x0
	;; [unrolled: 1-line block ×3, first 2 shown]
	v_mul_u32_u24_e32 v1, 0x107, v0
	v_mov_b32_e32 v5, 0
	v_mov_b32_e32 v9, 0
	s_waitcnt lgkmcnt(0)
	v_cmp_lt_u64_e64 s[0:1], s[14:15], 2
	v_add_u32_sdwa v7, s6, v1 dst_sel:DWORD dst_unused:UNUSED_PAD src0_sel:DWORD src1_sel:WORD_1
	v_mov_b32_e32 v8, v5
	s_and_b64 vcc, exec, s[0:1]
	v_mov_b32_e32 v10, 0
	s_cbranch_vccnz .LBB0_8
; %bb.1:
	s_load_dwordx2 s[0:1], s[4:5], 0x10
	s_add_u32 s2, s18, 8
	s_addc_u32 s3, s19, 0
	s_add_u32 s6, s16, 8
	s_addc_u32 s7, s17, 0
	v_mov_b32_e32 v9, 0
	s_waitcnt lgkmcnt(0)
	s_add_u32 s20, s0, 8
	v_mov_b32_e32 v10, 0
	v_mov_b32_e32 v1, v9
	s_addc_u32 s21, s1, 0
	s_mov_b64 s[22:23], 1
	v_mov_b32_e32 v2, v10
.LBB0_2:                                ; =>This Inner Loop Header: Depth=1
	s_load_dwordx2 s[24:25], s[20:21], 0x0
                                        ; implicit-def: $vgpr3_vgpr4
	s_waitcnt lgkmcnt(0)
	v_or_b32_e32 v6, s25, v8
	v_cmp_ne_u64_e32 vcc, 0, v[5:6]
	s_and_saveexec_b64 s[0:1], vcc
	s_xor_b64 s[26:27], exec, s[0:1]
	s_cbranch_execz .LBB0_4
; %bb.3:                                ;   in Loop: Header=BB0_2 Depth=1
	v_cvt_f32_u32_e32 v3, s24
	v_cvt_f32_u32_e32 v4, s25
	s_sub_u32 s0, 0, s24
	s_subb_u32 s1, 0, s25
	v_mac_f32_e32 v3, 0x4f800000, v4
	v_rcp_f32_e32 v3, v3
	v_mul_f32_e32 v3, 0x5f7ffffc, v3
	v_mul_f32_e32 v4, 0x2f800000, v3
	v_trunc_f32_e32 v4, v4
	v_mac_f32_e32 v3, 0xcf800000, v4
	v_cvt_u32_f32_e32 v4, v4
	v_cvt_u32_f32_e32 v3, v3
	v_mul_lo_u32 v6, s0, v4
	v_mul_hi_u32 v11, s0, v3
	v_mul_lo_u32 v13, s1, v3
	v_mul_lo_u32 v12, s0, v3
	v_add_u32_e32 v6, v11, v6
	v_add_u32_e32 v6, v6, v13
	v_mul_hi_u32 v11, v3, v12
	v_mul_lo_u32 v13, v3, v6
	v_mul_hi_u32 v15, v3, v6
	v_mul_hi_u32 v14, v4, v12
	v_mul_lo_u32 v12, v4, v12
	v_mul_hi_u32 v16, v4, v6
	v_add_co_u32_e32 v11, vcc, v11, v13
	v_addc_co_u32_e32 v13, vcc, 0, v15, vcc
	v_mul_lo_u32 v6, v4, v6
	v_add_co_u32_e32 v11, vcc, v11, v12
	v_addc_co_u32_e32 v11, vcc, v13, v14, vcc
	v_addc_co_u32_e32 v12, vcc, 0, v16, vcc
	v_add_co_u32_e32 v6, vcc, v11, v6
	v_addc_co_u32_e32 v11, vcc, 0, v12, vcc
	v_add_co_u32_e32 v3, vcc, v3, v6
	v_addc_co_u32_e32 v4, vcc, v4, v11, vcc
	v_mul_lo_u32 v6, s0, v4
	v_mul_hi_u32 v11, s0, v3
	v_mul_lo_u32 v12, s1, v3
	v_mul_lo_u32 v13, s0, v3
	v_add_u32_e32 v6, v11, v6
	v_add_u32_e32 v6, v6, v12
	v_mul_lo_u32 v14, v3, v6
	v_mul_hi_u32 v15, v3, v13
	v_mul_hi_u32 v16, v3, v6
	v_mul_hi_u32 v12, v4, v13
	v_mul_lo_u32 v13, v4, v13
	v_mul_hi_u32 v11, v4, v6
	v_add_co_u32_e32 v14, vcc, v15, v14
	v_addc_co_u32_e32 v15, vcc, 0, v16, vcc
	v_mul_lo_u32 v6, v4, v6
	v_add_co_u32_e32 v13, vcc, v14, v13
	v_addc_co_u32_e32 v12, vcc, v15, v12, vcc
	v_addc_co_u32_e32 v11, vcc, 0, v11, vcc
	v_add_co_u32_e32 v6, vcc, v12, v6
	v_addc_co_u32_e32 v11, vcc, 0, v11, vcc
	v_add_co_u32_e32 v6, vcc, v3, v6
	v_addc_co_u32_e32 v11, vcc, v4, v11, vcc
	v_mad_u64_u32 v[3:4], s[0:1], v7, v11, 0
	v_mul_hi_u32 v12, v7, v6
	v_add_co_u32_e32 v13, vcc, v12, v3
	v_addc_co_u32_e32 v14, vcc, 0, v4, vcc
	v_mad_u64_u32 v[3:4], s[0:1], v8, v6, 0
	v_mad_u64_u32 v[11:12], s[0:1], v8, v11, 0
	v_add_co_u32_e32 v3, vcc, v13, v3
	v_addc_co_u32_e32 v3, vcc, v14, v4, vcc
	v_addc_co_u32_e32 v4, vcc, 0, v12, vcc
	v_add_co_u32_e32 v6, vcc, v3, v11
	v_addc_co_u32_e32 v11, vcc, 0, v4, vcc
	v_mul_lo_u32 v12, s25, v6
	v_mul_lo_u32 v13, s24, v11
	v_mad_u64_u32 v[3:4], s[0:1], s24, v6, 0
	v_add3_u32 v4, v4, v13, v12
	v_sub_u32_e32 v12, v8, v4
	v_mov_b32_e32 v13, s25
	v_sub_co_u32_e32 v3, vcc, v7, v3
	v_subb_co_u32_e64 v12, s[0:1], v12, v13, vcc
	v_subrev_co_u32_e64 v13, s[0:1], s24, v3
	v_subbrev_co_u32_e64 v12, s[0:1], 0, v12, s[0:1]
	v_cmp_le_u32_e64 s[0:1], s25, v12
	v_cndmask_b32_e64 v14, 0, -1, s[0:1]
	v_cmp_le_u32_e64 s[0:1], s24, v13
	v_cndmask_b32_e64 v13, 0, -1, s[0:1]
	v_cmp_eq_u32_e64 s[0:1], s25, v12
	v_cndmask_b32_e64 v12, v14, v13, s[0:1]
	v_add_co_u32_e64 v13, s[0:1], 2, v6
	v_addc_co_u32_e64 v14, s[0:1], 0, v11, s[0:1]
	v_add_co_u32_e64 v15, s[0:1], 1, v6
	v_addc_co_u32_e64 v16, s[0:1], 0, v11, s[0:1]
	v_subb_co_u32_e32 v4, vcc, v8, v4, vcc
	v_cmp_ne_u32_e64 s[0:1], 0, v12
	v_cmp_le_u32_e32 vcc, s25, v4
	v_cndmask_b32_e64 v12, v16, v14, s[0:1]
	v_cndmask_b32_e64 v14, 0, -1, vcc
	v_cmp_le_u32_e32 vcc, s24, v3
	v_cndmask_b32_e64 v3, 0, -1, vcc
	v_cmp_eq_u32_e32 vcc, s25, v4
	v_cndmask_b32_e32 v3, v14, v3, vcc
	v_cmp_ne_u32_e32 vcc, 0, v3
	v_cndmask_b32_e64 v3, v15, v13, s[0:1]
	v_cndmask_b32_e32 v4, v11, v12, vcc
	v_cndmask_b32_e32 v3, v6, v3, vcc
.LBB0_4:                                ;   in Loop: Header=BB0_2 Depth=1
	s_andn2_saveexec_b64 s[0:1], s[26:27]
	s_cbranch_execz .LBB0_6
; %bb.5:                                ;   in Loop: Header=BB0_2 Depth=1
	v_cvt_f32_u32_e32 v3, s24
	s_sub_i32 s26, 0, s24
	v_rcp_iflag_f32_e32 v3, v3
	v_mul_f32_e32 v3, 0x4f7ffffe, v3
	v_cvt_u32_f32_e32 v3, v3
	v_mul_lo_u32 v4, s26, v3
	v_mul_hi_u32 v4, v3, v4
	v_add_u32_e32 v3, v3, v4
	v_mul_hi_u32 v3, v7, v3
	v_mul_lo_u32 v4, v3, s24
	v_add_u32_e32 v6, 1, v3
	v_sub_u32_e32 v4, v7, v4
	v_subrev_u32_e32 v11, s24, v4
	v_cmp_le_u32_e32 vcc, s24, v4
	v_cndmask_b32_e32 v4, v4, v11, vcc
	v_cndmask_b32_e32 v3, v3, v6, vcc
	v_add_u32_e32 v6, 1, v3
	v_cmp_le_u32_e32 vcc, s24, v4
	v_cndmask_b32_e32 v3, v3, v6, vcc
	v_mov_b32_e32 v4, v5
.LBB0_6:                                ;   in Loop: Header=BB0_2 Depth=1
	s_or_b64 exec, exec, s[0:1]
	v_mul_lo_u32 v6, v4, s24
	v_mul_lo_u32 v13, v3, s25
	v_mad_u64_u32 v[11:12], s[0:1], v3, s24, 0
	s_load_dwordx2 s[0:1], s[6:7], 0x0
	s_load_dwordx2 s[24:25], s[2:3], 0x0
	v_add3_u32 v6, v12, v13, v6
	v_sub_co_u32_e32 v7, vcc, v7, v11
	v_subb_co_u32_e32 v6, vcc, v8, v6, vcc
	s_waitcnt lgkmcnt(0)
	v_mul_lo_u32 v8, s0, v6
	v_mul_lo_u32 v11, s1, v7
	v_mad_u64_u32 v[9:10], s[0:1], s0, v7, v[9:10]
	v_mul_lo_u32 v6, s24, v6
	v_mul_lo_u32 v12, s25, v7
	v_mad_u64_u32 v[1:2], s[0:1], s24, v7, v[1:2]
	s_add_u32 s22, s22, 1
	s_addc_u32 s23, s23, 0
	s_add_u32 s2, s2, 8
	v_add3_u32 v2, v12, v2, v6
	s_addc_u32 s3, s3, 0
	v_mov_b32_e32 v6, s14
	s_add_u32 s6, s6, 8
	v_mov_b32_e32 v7, s15
	s_addc_u32 s7, s7, 0
	v_cmp_ge_u64_e32 vcc, s[22:23], v[6:7]
	s_add_u32 s20, s20, 8
	v_add3_u32 v10, v11, v10, v8
	s_addc_u32 s21, s21, 0
	s_cbranch_vccnz .LBB0_9
; %bb.7:                                ;   in Loop: Header=BB0_2 Depth=1
	v_mov_b32_e32 v8, v4
	v_mov_b32_e32 v7, v3
	s_branch .LBB0_2
.LBB0_8:
	v_mov_b32_e32 v1, v9
	v_mov_b32_e32 v3, v7
	;; [unrolled: 1-line block ×4, first 2 shown]
.LBB0_9:
	s_load_dwordx2 s[4:5], s[4:5], 0x28
	s_lshl_b64 s[6:7], s[14:15], 3
	s_add_u32 s2, s18, s6
	s_addc_u32 s3, s19, s7
                                        ; implicit-def: $vgpr26
	s_waitcnt lgkmcnt(0)
	v_cmp_gt_u64_e64 s[0:1], s[4:5], v[3:4]
	v_cmp_le_u64_e32 vcc, s[4:5], v[3:4]
	s_and_saveexec_b64 s[4:5], vcc
	s_xor_b64 s[4:5], exec, s[4:5]
; %bb.10:
	s_mov_b32 s14, 0x10624de
	v_mul_hi_u32 v5, v0, s14
                                        ; implicit-def: $vgpr9_vgpr10
	v_mul_u32_u24_e32 v5, 0xfa, v5
	v_sub_u32_e32 v26, v0, v5
                                        ; implicit-def: $vgpr0
; %bb.11:
	s_or_saveexec_b64 s[4:5], s[4:5]
                                        ; implicit-def: $vgpr15
                                        ; implicit-def: $vgpr17
                                        ; implicit-def: $vgpr11
                                        ; implicit-def: $vgpr19
                                        ; implicit-def: $vgpr13
                                        ; implicit-def: $vgpr23
                                        ; implicit-def: $vgpr25
                                        ; implicit-def: $vgpr21
                                        ; implicit-def: $vgpr8
                                        ; implicit-def: $vgpr6
	s_xor_b64 exec, exec, s[4:5]
	s_cbranch_execz .LBB0_13
; %bb.12:
	s_add_u32 s6, s16, s6
	s_addc_u32 s7, s17, s7
	s_load_dwordx2 s[6:7], s[6:7], 0x0
	s_mov_b32 s14, 0x10624de
	v_mul_hi_u32 v7, v0, s14
	s_waitcnt lgkmcnt(0)
	v_mul_lo_u32 v8, s7, v3
	v_mul_lo_u32 v11, s6, v4
	v_mad_u64_u32 v[5:6], s[6:7], s6, v3, 0
	v_mul_u32_u24_e32 v7, 0xfa, v7
	v_sub_u32_e32 v26, v0, v7
	v_add3_u32 v6, v6, v11, v8
	v_lshlrev_b64 v[5:6], 3, v[5:6]
	v_mov_b32_e32 v0, s9
	v_add_co_u32_e32 v7, vcc, s8, v5
	v_addc_co_u32_e32 v0, vcc, v0, v6, vcc
	v_lshlrev_b64 v[5:6], 3, v[9:10]
	s_movk_i32 s6, 0x1000
	v_add_co_u32_e32 v5, vcc, v7, v5
	v_addc_co_u32_e32 v0, vcc, v0, v6, vcc
	v_lshlrev_b32_e32 v6, 3, v26
	v_add_co_u32_e32 v27, vcc, v5, v6
	v_addc_co_u32_e32 v28, vcc, 0, v0, vcc
	v_add_co_u32_e32 v29, vcc, s6, v27
	v_addc_co_u32_e32 v30, vcc, 0, v28, vcc
	s_movk_i32 s6, 0x2000
	v_add_co_u32_e32 v31, vcc, s6, v27
	v_addc_co_u32_e32 v32, vcc, 0, v28, vcc
	v_add_co_u32_e32 v33, vcc, 0x3000, v27
	v_addc_co_u32_e32 v34, vcc, 0, v28, vcc
	;; [unrolled: 2-line block ×3, first 2 shown]
	global_load_dwordx2 v[5:6], v[27:28], off
	global_load_dwordx2 v[7:8], v[27:28], off offset:2000
	global_load_dwordx2 v[20:21], v[27:28], off offset:4000
	;; [unrolled: 1-line block ×9, first 2 shown]
.LBB0_13:
	s_or_b64 exec, exec, s[4:5]
	s_waitcnt vmcnt(5)
	v_sub_f32_e32 v9, v20, v22
	s_waitcnt vmcnt(1)
	v_sub_f32_e32 v27, v16, v18
	v_add_f32_e32 v27, v27, v9
	v_add_f32_e32 v9, v18, v22
	v_fma_f32 v28, -0.5, v9, v5
	v_add_f32_e32 v9, v16, v20
	v_add_f32_e32 v0, v20, v5
	v_fmac_f32_e32 v5, -0.5, v9
	v_sub_f32_e32 v9, v22, v20
	v_sub_f32_e32 v29, v18, v16
	v_add_f32_e32 v9, v29, v9
	v_sub_f32_e32 v29, v23, v19
	v_mov_b32_e32 v30, v5
	v_fmac_f32_e32 v30, 0xbf737871, v29
	v_sub_f32_e32 v31, v21, v17
	v_fmac_f32_e32 v5, 0x3f737871, v29
	v_fmac_f32_e32 v30, 0x3f167918, v31
	;; [unrolled: 1-line block ×5, first 2 shown]
	v_sub_f32_e32 v9, v24, v12
	s_waitcnt vmcnt(0)
	v_sub_f32_e32 v32, v14, v10
	v_add_f32_e32 v32, v32, v9
	v_add_f32_e32 v9, v10, v12
	v_add_f32_e32 v33, v14, v24
	v_fma_f32 v39, -0.5, v9, v7
	v_add_f32_e32 v9, v24, v7
	v_fmac_f32_e32 v7, -0.5, v33
	v_sub_f32_e32 v33, v12, v24
	v_sub_f32_e32 v34, v10, v14
	v_add_f32_e32 v33, v34, v33
	v_sub_f32_e32 v34, v13, v11
	v_mov_b32_e32 v35, v7
	v_fmac_f32_e32 v35, 0xbf737871, v34
	v_sub_f32_e32 v36, v25, v15
	v_fmac_f32_e32 v7, 0x3f737871, v34
	v_add_f32_e32 v0, v22, v0
	v_fmac_f32_e32 v35, 0x3f167918, v36
	v_fmac_f32_e32 v7, 0xbf167918, v36
	v_add_f32_e32 v0, v18, v0
	v_fmac_f32_e32 v35, 0x3e9e377a, v33
	v_fmac_f32_e32 v7, 0x3e9e377a, v33
	v_sub_f32_e32 v33, v25, v13
	v_sub_f32_e32 v37, v15, v11
	v_add_f32_e32 v43, v16, v0
	v_add_f32_e32 v0, v12, v9
	;; [unrolled: 1-line block ×6, first 2 shown]
	v_fma_f32 v40, -0.5, v37, v8
	v_add_f32_e32 v37, v25, v8
	v_fmac_f32_e32 v8, -0.5, v38
	v_sub_f32_e32 v38, v24, v14
	v_sub_f32_e32 v41, v12, v10
	v_add_f32_e32 v12, v14, v0
	v_mov_b32_e32 v14, v39
	v_mov_b32_e32 v42, v8
	v_fmac_f32_e32 v14, 0x3f737871, v36
	v_mov_b32_e32 v45, v40
	v_sub_f32_e32 v24, v13, v25
	v_sub_f32_e32 v25, v11, v15
	v_fmac_f32_e32 v42, 0x3f737871, v41
	v_fmac_f32_e32 v8, 0xbf737871, v41
	v_mov_b32_e32 v44, v28
	v_fmac_f32_e32 v14, 0x3f167918, v34
	v_fmac_f32_e32 v45, 0xbf737871, v38
	v_add_f32_e32 v24, v25, v24
	v_fmac_f32_e32 v42, 0xbf167918, v38
	v_fmac_f32_e32 v8, 0x3f167918, v38
	;; [unrolled: 1-line block ×7, first 2 shown]
	s_mov_b32 s5, 0x3f737871
	v_fmac_f32_e32 v44, 0x3f167918, v29
	v_fmac_f32_e32 v45, 0x3e9e377a, v33
	v_mul_f32_e32 v46, 0x3f4f1bbd, v14
	v_mul_f32_e32 v47, 0x3e9e377a, v35
	;; [unrolled: 1-line block ×3, first 2 shown]
	v_fmac_f32_e32 v39, 0xbf737871, v36
	v_fmac_f32_e32 v44, 0x3e9e377a, v27
	;; [unrolled: 1-line block ×4, first 2 shown]
	v_fma_f32 v48, v8, s5, -v0
	v_mul_u32_u24_e32 v0, 10, v26
	v_fmac_f32_e32 v39, 0xbf167918, v34
	v_fmac_f32_e32 v40, 0x3f737871, v38
	v_add_f32_e32 v9, v12, v43
	v_add_f32_e32 v10, v44, v46
	;; [unrolled: 1-line block ×4, first 2 shown]
	v_lshl_add_u32 v0, v0, 2, 0
	v_fmac_f32_e32 v28, 0xbf737871, v31
	v_fmac_f32_e32 v39, 0x3e9e377a, v32
	;; [unrolled: 1-line block ×3, first 2 shown]
	ds_write2_b64 v0, v[9:10], v[24:25] offset1:1
	v_fmac_f32_e32 v28, 0xbf167918, v29
	v_fmac_f32_e32 v40, 0x3e9e377a, v33
	s_mov_b32 s4, 0x3f167918
	v_mul_f32_e32 v24, 0x3f4f1bbd, v39
	v_fmac_f32_e32 v28, 0x3e9e377a, v27
	v_fma_f32 v27, v40, s4, -v24
	v_sub_f32_e32 v9, v44, v46
	v_sub_f32_e32 v10, v30, v47
	;; [unrolled: 1-line block ×3, first 2 shown]
	v_add_f32_e32 v24, v28, v27
	ds_write2_b64 v0, v[24:25], v[9:10] offset0:2 offset1:3
	v_add_f32_e32 v9, v21, v6
	v_add_f32_e32 v9, v23, v9
	;; [unrolled: 1-line block ×4, first 2 shown]
	v_sub_f32_e32 v18, v22, v18
	v_sub_f32_e32 v12, v21, v23
	;; [unrolled: 1-line block ×4, first 2 shown]
	v_add_f32_e32 v20, v17, v21
	v_sub_f32_e32 v21, v17, v19
	v_sub_f32_e32 v19, v19, v17
	v_add_f32_e32 v17, v17, v9
	v_add_f32_e32 v9, v13, v37
	;; [unrolled: 1-line block ×3, first 2 shown]
	v_fma_f32 v23, -0.5, v10, v6
	v_fmac_f32_e32 v6, -0.5, v20
	v_add_f32_e32 v15, v15, v9
	v_mov_b32_e32 v20, v23
	v_add_f32_e32 v9, v19, v22
	v_mov_b32_e32 v19, v6
	v_fmac_f32_e32 v20, 0xbf737871, v16
	v_fmac_f32_e32 v19, 0x3f737871, v18
	;; [unrolled: 1-line block ×3, first 2 shown]
	v_add_f32_e32 v21, v21, v12
	s_mov_b32 s7, 0xbf737871
	v_fmac_f32_e32 v20, 0xbf167918, v18
	v_fmac_f32_e32 v19, 0xbf167918, v16
	;; [unrolled: 1-line block ×3, first 2 shown]
	v_mul_f32_e32 v22, 0xbf167918, v14
	v_mul_f32_e32 v29, 0xbf737871, v35
	;; [unrolled: 1-line block ×3, first 2 shown]
	v_fmac_f32_e32 v20, 0x3e9e377a, v21
	v_fmac_f32_e32 v19, 0x3e9e377a, v9
	;; [unrolled: 1-line block ×5, first 2 shown]
	v_fma_f32 v30, v7, s7, -v8
	s_movk_i32 s6, 0xffdc
	v_add_f32_e32 v9, v15, v17
	v_add_f32_e32 v10, v20, v22
	v_add_f32_e32 v11, v19, v29
	v_add_f32_e32 v12, v6, v30
	v_sub_f32_e32 v8, v28, v27
	v_sub_f32_e32 v7, v5, v48
	v_mad_i32_i24 v5, v26, s6, v0
	s_load_dwordx2 s[2:3], s[2:3], 0x0
	ds_write_b64 v0, v[7:8] offset:32
	s_waitcnt lgkmcnt(0)
	s_barrier
	v_add_u32_e32 v7, 0x7c0, v5
	v_add_u32_e32 v8, 0xfa0, v5
	;; [unrolled: 1-line block ×4, first 2 shown]
	ds_read2_b32 v[24:25], v5 offset1:250
	ds_read2_b32 v[31:32], v7 offset0:4 offset1:254
	ds_read2_b32 v[33:34], v8 offset1:250
	ds_read2_b32 v[35:36], v13 offset0:4 offset1:254
	ds_read2_b32 v[37:38], v14 offset1:250
	s_waitcnt lgkmcnt(0)
	s_barrier
	ds_write2_b64 v0, v[9:10], v[11:12] offset1:1
	s_mov_b32 s6, 0xbf167918
	v_mul_f32_e32 v11, 0x3f4f1bbd, v40
	s_movk_i32 s8, 0xcd
	v_fma_f32 v12, v39, s6, -v11
	v_sub_f32_e32 v11, v6, v30
	v_mul_lo_u16_sdwa v6, v26, s8 dst_sel:DWORD dst_unused:UNUSED_PAD src0_sel:BYTE_0 src1_sel:DWORD
	v_fmac_f32_e32 v23, 0x3f737871, v16
	v_lshrrev_b16_e32 v43, 11, v6
	v_fmac_f32_e32 v23, 0x3f167918, v18
	v_mul_lo_u16_e32 v6, 10, v43
	v_fmac_f32_e32 v23, 0x3e9e377a, v21
	v_sub_u16_e32 v44, v26, v6
	v_mov_b32_e32 v6, 5
	v_sub_f32_e32 v9, v20, v22
	v_sub_f32_e32 v10, v19, v29
	;; [unrolled: 1-line block ×3, first 2 shown]
	v_add_f32_e32 v15, v23, v12
	v_sub_f32_e32 v12, v23, v12
	v_lshlrev_b32_sdwa v6, v6, v44 dst_sel:DWORD dst_unused:UNUSED_PAD src0_sel:DWORD src1_sel:BYTE_0
	ds_write2_b64 v0, v[15:16], v[9:10] offset0:2 offset1:3
	ds_write_b64 v0, v[11:12] offset:32
	s_waitcnt lgkmcnt(0)
	s_barrier
	global_load_dwordx4 v[9:12], v6, s[12:13]
	s_mov_b32 s8, 0xcccd
	v_add_u32_e32 v15, 0xfa, v26
	v_mul_u32_u24_sdwa v16, v15, s8 dst_sel:DWORD dst_unused:UNUSED_PAD src0_sel:WORD_0 src1_sel:DWORD
	v_lshrrev_b32_e32 v45, 19, v16
	v_mul_lo_u16_e32 v16, 10, v45
	v_sub_u16_e32 v46, v15, v16
	v_lshlrev_b32_e32 v39, 5, v46
	global_load_dwordx4 v[16:19], v39, s[12:13]
	global_load_dwordx4 v[20:23], v6, s[12:13] offset:16
	global_load_dwordx4 v[27:30], v39, s[12:13] offset:16
	ds_read2_b32 v[39:40], v7 offset0:4 offset1:254
	ds_read2_b32 v[41:42], v8 offset1:250
	s_waitcnt vmcnt(3) lgkmcnt(1)
	v_mul_f32_e32 v6, v39, v10
	v_mul_f32_e32 v48, v31, v10
	v_fma_f32 v47, v31, v9, -v6
	v_fmac_f32_e32 v48, v39, v9
	s_waitcnt lgkmcnt(0)
	v_mul_f32_e32 v6, v41, v12
	v_mul_f32_e32 v39, v33, v12
	ds_read2_b32 v[9:10], v13 offset0:4 offset1:254
	v_fma_f32 v31, v33, v11, -v6
	v_fmac_f32_e32 v39, v41, v11
	ds_read2_b32 v[11:12], v14 offset1:250
	s_waitcnt vmcnt(2)
	v_mul_f32_e32 v6, v40, v17
	v_fma_f32 v41, v32, v16, -v6
	v_mul_f32_e32 v17, v32, v17
	v_mul_f32_e32 v6, v42, v19
	v_fmac_f32_e32 v17, v40, v16
	v_fma_f32 v16, v34, v18, -v6
	v_mul_f32_e32 v19, v34, v19
	s_waitcnt vmcnt(1) lgkmcnt(1)
	v_mul_f32_e32 v6, v9, v21
	v_fmac_f32_e32 v19, v42, v18
	v_fma_f32 v18, v35, v20, -v6
	v_mul_f32_e32 v21, v35, v21
	s_waitcnt lgkmcnt(0)
	v_mul_f32_e32 v6, v11, v23
	v_fmac_f32_e32 v21, v9, v20
	v_fma_f32 v20, v37, v22, -v6
	v_mul_f32_e32 v23, v37, v23
	s_waitcnt vmcnt(0)
	v_mul_f32_e32 v6, v10, v28
	v_fmac_f32_e32 v23, v11, v22
	v_fma_f32 v11, v36, v27, -v6
	v_mul_f32_e32 v22, v36, v28
	v_mul_f32_e32 v6, v12, v30
	v_fmac_f32_e32 v22, v10, v27
	v_fma_f32 v27, v38, v29, -v6
	v_mul_f32_e32 v28, v38, v30
	v_sub_f32_e32 v6, v47, v31
	v_sub_f32_e32 v9, v20, v18
	v_fmac_f32_e32 v28, v12, v29
	v_add_f32_e32 v12, v6, v9
	v_mov_b32_e32 v6, 2
	v_lshlrev_b32_sdwa v9, v6, v44 dst_sel:DWORD dst_unused:UNUSED_PAD src0_sel:DWORD src1_sel:BYTE_0
	v_mul_u32_u24_e32 v10, 0xc8, v43
	v_add3_u32 v29, 0, v10, v9
	v_add_f32_e32 v9, v24, v47
	v_add_f32_e32 v9, v9, v31
	;; [unrolled: 1-line block ×5, first 2 shown]
	v_fma_f32 v32, -0.5, v9, v24
	v_sub_f32_e32 v33, v48, v23
	v_mov_b32_e32 v34, v32
	v_fmac_f32_e32 v34, 0x3f737871, v33
	v_sub_f32_e32 v35, v39, v21
	v_fmac_f32_e32 v34, 0x3f167918, v35
	v_fmac_f32_e32 v34, 0x3e9e377a, v12
	ds_read2_b32 v[9:10], v5 offset1:250
	s_waitcnt lgkmcnt(0)
	s_barrier
	ds_write2_b32 v29, v30, v34 offset1:10
	v_sub_f32_e32 v30, v31, v47
	v_sub_f32_e32 v34, v18, v20
	v_add_f32_e32 v30, v30, v34
	v_add_f32_e32 v34, v47, v20
	v_fma_f32 v24, -0.5, v34, v24
	v_mov_b32_e32 v34, v24
	v_fmac_f32_e32 v34, 0xbf737871, v35
	v_fmac_f32_e32 v24, 0x3f737871, v35
	v_fmac_f32_e32 v32, 0xbf737871, v33
	v_fmac_f32_e32 v34, 0x3f167918, v33
	v_fmac_f32_e32 v24, 0xbf167918, v33
	v_fmac_f32_e32 v32, 0xbf167918, v35
	v_fmac_f32_e32 v34, 0x3e9e377a, v30
	v_fmac_f32_e32 v24, 0x3e9e377a, v30
	v_fmac_f32_e32 v32, 0x3e9e377a, v12
	v_add_f32_e32 v12, v16, v11
	v_add_f32_e32 v30, v41, v27
	ds_write2_b32 v29, v34, v24 offset0:20 offset1:30
	v_fma_f32 v12, -0.5, v12, v25
	v_add_f32_e32 v24, v25, v41
	v_fmac_f32_e32 v25, -0.5, v30
	v_sub_f32_e32 v30, v16, v41
	v_sub_f32_e32 v33, v11, v27
	v_add_f32_e32 v30, v30, v33
	v_sub_f32_e32 v33, v19, v22
	v_mov_b32_e32 v34, v25
	v_fmac_f32_e32 v34, 0xbf737871, v33
	v_sub_f32_e32 v35, v17, v28
	v_fmac_f32_e32 v25, 0x3f737871, v33
	v_fmac_f32_e32 v34, 0x3f167918, v35
	;; [unrolled: 1-line block ×5, first 2 shown]
	ds_write_b32 v29, v32 offset:160
	v_lshlrev_b32_e32 v30, 2, v46
	v_mul_u32_u24_e32 v32, 0xc8, v45
	v_add3_u32 v30, 0, v32, v30
	ds_write2_b32 v30, v34, v25 offset0:20 offset1:30
	v_sub_f32_e32 v25, v41, v16
	v_sub_f32_e32 v32, v27, v11
	v_add_f32_e32 v25, v25, v32
	v_mov_b32_e32 v32, v12
	v_add_f32_e32 v24, v24, v16
	v_fmac_f32_e32 v32, 0x3f737871, v35
	v_add_f32_e32 v24, v24, v11
	v_fmac_f32_e32 v32, 0x3f167918, v33
	;; [unrolled: 2-line block ×3, first 2 shown]
	ds_write2_b32 v30, v24, v32 offset1:10
	v_sub_f32_e32 v18, v31, v18
	v_sub_f32_e32 v24, v48, v39
	v_sub_f32_e32 v31, v23, v21
	v_fmac_f32_e32 v12, 0xbf737871, v35
	v_add_f32_e32 v40, v24, v31
	v_fmac_f32_e32 v12, 0xbf167918, v33
	v_add_f32_e32 v24, v39, v21
	v_fmac_f32_e32 v12, 0x3e9e377a, v25
	v_fma_f32 v42, -0.5, v24, v9
	v_sub_f32_e32 v20, v47, v20
	ds_write_b32 v30, v12 offset:160
	v_add_f32_e32 v12, v9, v48
	v_mov_b32_e32 v43, v42
	v_add_f32_e32 v12, v12, v39
	v_fmac_f32_e32 v43, 0xbf737871, v20
	v_add_f32_e32 v12, v12, v21
	v_fmac_f32_e32 v43, 0xbf167918, v18
	;; [unrolled: 2-line block ×3, first 2 shown]
	s_waitcnt lgkmcnt(0)
	s_barrier
	ds_read2_b32 v[24:25], v5 offset1:250
	ds_read2_b32 v[31:32], v7 offset0:4 offset1:254
	ds_read2_b32 v[33:34], v8 offset1:250
	ds_read2_b32 v[35:36], v13 offset0:4 offset1:254
	ds_read2_b32 v[37:38], v14 offset1:250
	s_waitcnt lgkmcnt(0)
	s_barrier
	ds_write2_b32 v29, v12, v43 offset1:10
	v_sub_f32_e32 v12, v39, v48
	v_add_f32_e32 v39, v48, v23
	v_sub_f32_e32 v21, v21, v23
	v_fma_f32 v9, -0.5, v39, v9
	v_add_f32_e32 v12, v12, v21
	v_mov_b32_e32 v21, v9
	v_fmac_f32_e32 v21, 0x3f737871, v18
	v_fmac_f32_e32 v9, 0xbf737871, v18
	;; [unrolled: 1-line block ×6, first 2 shown]
	v_add_f32_e32 v18, v19, v22
	v_fmac_f32_e32 v21, 0x3e9e377a, v12
	v_fmac_f32_e32 v9, 0x3e9e377a, v12
	v_sub_f32_e32 v11, v16, v11
	v_sub_f32_e32 v12, v17, v19
	;; [unrolled: 1-line block ×3, first 2 shown]
	v_fma_f32 v18, -0.5, v18, v10
	ds_write2_b32 v29, v21, v9 offset0:20 offset1:30
	v_sub_f32_e32 v9, v41, v27
	v_add_f32_e32 v12, v12, v16
	v_add_f32_e32 v16, v10, v17
	v_mov_b32_e32 v20, v18
	v_add_f32_e32 v16, v16, v19
	v_fmac_f32_e32 v20, 0xbf737871, v9
	v_fmac_f32_e32 v18, 0x3f737871, v9
	v_add_f32_e32 v16, v16, v22
	v_fmac_f32_e32 v20, 0xbf167918, v11
	v_fmac_f32_e32 v18, 0x3f167918, v11
	;; [unrolled: 1-line block ×3, first 2 shown]
	v_add_f32_e32 v16, v16, v28
	v_fmac_f32_e32 v20, 0x3e9e377a, v12
	v_fmac_f32_e32 v18, 0x3e9e377a, v12
	v_add_f32_e32 v12, v17, v28
	ds_write_b32 v29, v42 offset:160
	ds_write2_b32 v30, v16, v20 offset1:10
	v_fmac_f32_e32 v10, -0.5, v12
	v_sub_f32_e32 v12, v19, v17
	v_sub_f32_e32 v16, v22, v28
	v_add_f32_e32 v12, v12, v16
	v_mov_b32_e32 v16, v10
	v_fmac_f32_e32 v16, 0x3f737871, v11
	v_fmac_f32_e32 v10, 0xbf737871, v11
	;; [unrolled: 1-line block ×4, first 2 shown]
	v_mov_b32_e32 v9, 41
	v_mul_lo_u16_sdwa v9, v26, v9 dst_sel:DWORD dst_unused:UNUSED_PAD src0_sel:BYTE_0 src1_sel:DWORD
	v_lshrrev_b16_e32 v45, 11, v9
	v_mul_lo_u16_e32 v9, 50, v45
	v_sub_u16_e32 v46, v26, v9
	v_mov_b32_e32 v9, 9
	v_mul_u32_u24_sdwa v9, v46, v9 dst_sel:DWORD dst_unused:UNUSED_PAD src0_sel:BYTE_0 src1_sel:DWORD
	v_fmac_f32_e32 v16, 0x3e9e377a, v12
	v_fmac_f32_e32 v10, 0x3e9e377a, v12
	v_lshlrev_b32_e32 v41, 3, v9
	ds_write2_b32 v30, v16, v10 offset0:20 offset1:30
	ds_write_b32 v30, v18 offset:160
	s_waitcnt lgkmcnt(0)
	s_barrier
	global_load_dwordx4 v[9:12], v41, s[12:13] offset:320
	global_load_dwordx4 v[16:19], v41, s[12:13] offset:336
	;; [unrolled: 1-line block ×4, first 2 shown]
	global_load_dwordx2 v[39:40], v41, s[12:13] offset:384
	ds_read2_b32 v[41:42], v5 offset1:250
	ds_read2_b32 v[43:44], v7 offset0:4 offset1:254
	v_lshlrev_b32_sdwa v6, v6, v46 dst_sel:DWORD dst_unused:UNUSED_PAD src0_sel:DWORD src1_sel:BYTE_0
	s_waitcnt vmcnt(4) lgkmcnt(1)
	v_mul_f32_e32 v47, v42, v10
	v_fma_f32 v47, v25, v9, -v47
	v_mul_f32_e32 v25, v25, v10
	v_fmac_f32_e32 v25, v42, v9
	s_waitcnt lgkmcnt(0)
	v_mul_f32_e32 v9, v43, v12
	v_fma_f32 v42, v31, v11, -v9
	ds_read2_b32 v[9:10], v8 offset1:250
	v_mul_f32_e32 v31, v31, v12
	v_fmac_f32_e32 v31, v43, v11
	s_waitcnt vmcnt(3)
	v_mul_f32_e32 v11, v44, v17
	v_fma_f32 v43, v32, v16, -v11
	v_mul_f32_e32 v17, v32, v17
	s_waitcnt lgkmcnt(0)
	v_mul_f32_e32 v11, v9, v19
	v_fmac_f32_e32 v17, v44, v16
	v_fma_f32 v16, v33, v18, -v11
	ds_read2_b32 v[11:12], v13 offset0:4 offset1:254
	v_mul_f32_e32 v19, v33, v19
	v_fmac_f32_e32 v19, v9, v18
	s_waitcnt vmcnt(2)
	v_mul_f32_e32 v9, v10, v21
	v_fma_f32 v18, v34, v20, -v9
	v_mul_f32_e32 v21, v34, v21
	s_waitcnt lgkmcnt(0)
	v_mul_f32_e32 v9, v11, v23
	v_fmac_f32_e32 v21, v10, v20
	v_fma_f32 v20, v35, v22, -v9
	ds_read2_b32 v[9:10], v14 offset1:250
	v_mul_f32_e32 v23, v35, v23
	v_fmac_f32_e32 v23, v11, v22
	s_waitcnt vmcnt(1)
	v_mul_f32_e32 v22, v36, v28
	v_mul_f32_e32 v11, v12, v28
	v_fmac_f32_e32 v22, v12, v27
	s_waitcnt lgkmcnt(0)
	v_mul_f32_e32 v12, v9, v30
	v_fma_f32 v11, v36, v27, -v11
	v_fma_f32 v12, v37, v29, -v12
	v_mul_f32_e32 v27, v37, v30
	s_waitcnt vmcnt(0)
	v_mul_f32_e32 v28, v38, v40
	v_fmac_f32_e32 v27, v9, v29
	v_mul_f32_e32 v9, v10, v40
	v_fmac_f32_e32 v28, v10, v39
	v_add_f32_e32 v10, v16, v20
	v_add_f32_e32 v30, v42, v12
	v_fma_f32 v9, v38, v39, -v9
	v_fma_f32 v10, -0.5, v10, v24
	v_add_f32_e32 v29, v24, v42
	v_fmac_f32_e32 v24, -0.5, v30
	v_sub_f32_e32 v30, v16, v42
	v_sub_f32_e32 v32, v20, v12
	v_add_f32_e32 v30, v30, v32
	v_add_f32_e32 v32, v18, v11
	;; [unrolled: 1-line block ×3, first 2 shown]
	v_fma_f32 v32, -0.5, v32, v47
	v_add_f32_e32 v33, v47, v43
	v_fmac_f32_e32 v47, -0.5, v34
	v_sub_f32_e32 v34, v18, v43
	v_sub_f32_e32 v35, v11, v9
	v_add_f32_e32 v34, v34, v35
	v_add_f32_e32 v35, v21, v22
	;; [unrolled: 1-line block ×3, first 2 shown]
	v_sub_f32_e32 v44, v21, v22
	v_fma_f32 v35, -0.5, v35, v25
	v_add_f32_e32 v36, v25, v17
	v_fmac_f32_e32 v25, -0.5, v37
	v_mov_b32_e32 v48, v47
	v_fmac_f32_e32 v47, 0x3f737871, v44
	v_sub_f32_e32 v49, v17, v28
	v_sub_f32_e32 v50, v18, v11
	;; [unrolled: 1-line block ×4, first 2 shown]
	v_fmac_f32_e32 v47, 0xbf167918, v49
	v_mov_b32_e32 v51, v25
	v_fmac_f32_e32 v25, 0xbf737871, v50
	v_sub_f32_e32 v52, v43, v9
	v_add_f32_e32 v37, v37, v38
	v_fmac_f32_e32 v47, 0x3e9e377a, v34
	v_fmac_f32_e32 v25, 0x3f167918, v52
	;; [unrolled: 1-line block ×3, first 2 shown]
	v_mul_f32_e32 v53, 0x3e9e377a, v47
	v_add_f32_e32 v29, v29, v16
	v_fma_f32 v53, v25, s5, -v53
	v_mul_f32_e32 v25, 0x3e9e377a, v25
	v_add_f32_e32 v29, v29, v20
	v_fma_f32 v25, v47, s7, -v25
	v_sub_f32_e32 v47, v16, v20
	v_sub_f32_e32 v58, v42, v12
	;; [unrolled: 1-line block ×3, first 2 shown]
	v_add_f32_e32 v29, v29, v12
	v_sub_f32_e32 v12, v12, v20
	v_sub_f32_e32 v38, v19, v23
	v_add_f32_e32 v12, v16, v12
	v_add_f32_e32 v16, v33, v18
	v_mov_b32_e32 v39, v24
	v_fmac_f32_e32 v24, 0x3f737871, v38
	v_sub_f32_e32 v40, v31, v27
	v_add_f32_e32 v16, v16, v11
	v_fmac_f32_e32 v24, 0xbf167918, v40
	v_sub_f32_e32 v18, v43, v18
	v_add_f32_e32 v16, v16, v9
	v_sub_f32_e32 v9, v9, v11
	v_fmac_f32_e32 v24, 0x3e9e377a, v30
	v_add_f32_e32 v9, v18, v9
	v_sub_f32_e32 v11, v17, v21
	v_sub_f32_e32 v17, v28, v22
	v_mov_b32_e32 v18, v32
	v_mov_b32_e32 v20, v35
	v_fmac_f32_e32 v32, 0xbf737871, v49
	v_add_f32_e32 v54, v24, v53
	v_sub_f32_e32 v24, v24, v53
	v_add_f32_e32 v53, v19, v23
	v_add_f32_e32 v56, v31, v27
	;; [unrolled: 1-line block ×3, first 2 shown]
	v_mul_u32_u24_e32 v17, 0x7d0, v45
	v_fmac_f32_e32 v20, 0xbf737871, v52
	v_fmac_f32_e32 v51, 0x3f737871, v50
	v_fmac_f32_e32 v32, 0xbf167918, v44
	v_fmac_f32_e32 v35, 0x3f737871, v52
	v_fma_f32 v53, -0.5, v53, v41
	v_add_f32_e32 v55, v41, v31
	v_fmac_f32_e32 v41, -0.5, v56
	v_sub_f32_e32 v56, v19, v31
	v_sub_f32_e32 v57, v23, v27
	v_add3_u32 v17, 0, v17, v6
	v_mov_b32_e32 v6, v10
	v_fmac_f32_e32 v18, 0x3f737871, v49
	v_fmac_f32_e32 v20, 0xbf167918, v50
	;; [unrolled: 1-line block ×8, first 2 shown]
	v_add_f32_e32 v56, v56, v57
	v_mov_b32_e32 v57, v41
	v_fmac_f32_e32 v41, 0xbf737871, v47
	v_fmac_f32_e32 v6, 0x3f737871, v40
	;; [unrolled: 1-line block ×9, first 2 shown]
	v_mul_f32_e32 v11, 0x3f4f1bbd, v32
	v_fmac_f32_e32 v41, 0x3f167918, v58
	v_fmac_f32_e32 v6, 0x3f167918, v38
	;; [unrolled: 1-line block ×3, first 2 shown]
	v_mul_f32_e32 v33, 0x3f167918, v20
	v_fmac_f32_e32 v39, 0x3e9e377a, v30
	v_fmac_f32_e32 v48, 0x3e9e377a, v34
	v_mul_f32_e32 v30, 0x3f737871, v51
	v_fmac_f32_e32 v10, 0x3e9e377a, v12
	v_fma_f32 v11, v35, s4, -v11
	v_fmac_f32_e32 v41, 0x3e9e377a, v56
	v_fmac_f32_e32 v6, 0x3e9e377a, v12
	;; [unrolled: 1-line block ×4, first 2 shown]
	v_sub_f32_e32 v9, v29, v16
	v_add_f32_e32 v12, v10, v11
	v_add_f32_e32 v59, v41, v25
	v_sub_f32_e32 v25, v41, v25
	s_barrier
	v_add_f32_e32 v41, v29, v16
	v_add_f32_e32 v42, v6, v33
	ds_write2_b32 v17, v12, v9 offset0:200 offset1:250
	v_sub_f32_e32 v6, v6, v33
	v_sub_f32_e32 v9, v39, v30
	v_add_u32_e32 v16, 0x400, v17
	ds_write2_b32 v16, v6, v9 offset0:44 offset1:94
	v_sub_f32_e32 v6, v10, v11
	ds_write2_b32 v16, v24, v6 offset0:144 offset1:194
	v_add_f32_e32 v6, v55, v19
	v_add_f32_e32 v6, v6, v23
	v_sub_f32_e32 v9, v31, v19
	v_add_f32_e32 v19, v6, v27
	v_sub_f32_e32 v6, v27, v23
	v_add_f32_e32 v23, v9, v6
	v_add_f32_e32 v6, v36, v21
	;; [unrolled: 1-line block ×4, first 2 shown]
	v_mul_f32_e32 v18, 0xbf167918, v18
	ds_write2_b32 v17, v41, v42 offset1:50
	ds_write2_b32 v17, v34, v54 offset0:100 offset1:150
	v_add_f32_e32 v21, v6, v28
	v_fmac_f32_e32 v18, 0x3f4f1bbd, v20
	v_mov_b32_e32 v20, v53
	s_waitcnt lgkmcnt(0)
	s_barrier
	ds_read2_b32 v[5:6], v5 offset1:250
	ds_read2_b32 v[11:12], v7 offset0:4 offset1:254
	ds_read2_b32 v[9:10], v8 offset1:250
	ds_read2_b32 v[7:8], v13 offset0:4 offset1:254
	ds_read2_b32 v[13:14], v14 offset1:250
	v_fmac_f32_e32 v20, 0xbf737871, v58
	v_fmac_f32_e32 v20, 0xbf167918, v47
	;; [unrolled: 1-line block ×3, first 2 shown]
	v_add_f32_e32 v22, v19, v21
	v_add_f32_e32 v24, v20, v18
	v_fmac_f32_e32 v53, 0x3f737871, v58
	v_fmac_f32_e32 v57, 0x3f737871, v47
	s_waitcnt lgkmcnt(0)
	s_barrier
	ds_write2_b32 v17, v22, v24 offset1:50
	v_fmac_f32_e32 v53, 0x3f167918, v47
	v_fmac_f32_e32 v57, 0xbf167918, v58
	v_mul_f32_e32 v22, 0xbf737871, v48
	v_fmac_f32_e32 v53, 0x3e9e377a, v23
	v_fmac_f32_e32 v57, 0x3e9e377a, v56
	;; [unrolled: 1-line block ×3, first 2 shown]
	v_mul_f32_e32 v23, 0x3f4f1bbd, v35
	v_fma_f32 v23, v32, s6, -v23
	v_sub_f32_e32 v18, v20, v18
	v_add_f32_e32 v20, v57, v22
	v_sub_f32_e32 v19, v19, v21
	v_sub_f32_e32 v21, v57, v22
	v_add_f32_e32 v22, v53, v23
	v_sub_f32_e32 v23, v53, v23
	ds_write2_b32 v17, v20, v59 offset0:100 offset1:150
	ds_write2_b32 v17, v22, v19 offset0:200 offset1:250
	;; [unrolled: 1-line block ×4, first 2 shown]
	s_waitcnt lgkmcnt(0)
	s_barrier
	s_and_saveexec_b64 s[4:5], s[0:1]
	s_cbranch_execz .LBB0_15
; %bb.14:
	v_lshlrev_b32_e32 v23, 2, v15
	v_mov_b32_e32 v24, 0
	v_lshlrev_b64 v[15:16], 3, v[23:24]
	v_mov_b32_e32 v25, s13
	v_add_co_u32_e32 v27, vcc, s12, v15
	v_addc_co_u32_e32 v28, vcc, v25, v16, vcc
	global_load_dwordx4 v[15:18], v[27:28], off offset:3920
	global_load_dwordx4 v[19:22], v[27:28], off offset:3936
	v_mul_i32_i24_e32 v23, 0xffffffdc, v26
	v_add_u32_e32 v0, v0, v23
	v_lshlrev_b32_e32 v23, 2, v26
	v_lshlrev_b64 v[27:28], 3, v[23:24]
	v_add_u32_e32 v29, 0xfa0, v0
	v_add_co_u32_e32 v41, vcc, s12, v27
	v_add_u32_e32 v30, 0x7c0, v0
	v_addc_co_u32_e32 v42, vcc, v25, v28, vcc
	ds_read2_b32 v[35:36], v0 offset1:250
	ds_read2_b32 v[37:38], v29 offset1:250
	ds_read2_b32 v[39:40], v30 offset0:4 offset1:254
	global_load_dwordx4 v[27:30], v[41:42], off offset:3936
	global_load_dwordx4 v[31:34], v[41:42], off offset:3920
	v_add_u32_e32 v43, 0x1760, v0
	v_add_u32_e32 v44, 0x1f40, v0
	v_mul_lo_u32 v45, s3, v3
	v_mul_lo_u32 v46, s2, v4
	v_mad_u64_u32 v[3:4], s[0:1], s2, v3, 0
	ds_read2_b32 v[41:42], v43 offset0:4 offset1:254
	ds_read2_b32 v[43:44], v44 offset1:250
	s_mov_b32 s0, 0x10624dd3
	v_add3_u32 v4, v4, v46, v45
	v_lshlrev_b64 v[3:4], 3, v[3:4]
	s_movk_i32 s1, 0x1000
	v_add_co_u32_e32 v3, vcc, s10, v3
	s_waitcnt vmcnt(3)
	v_mul_f32_e32 v0, v10, v18
	v_mul_f32_e32 v23, v12, v16
	s_waitcnt vmcnt(2)
	v_mul_f32_e32 v25, v8, v20
	v_mul_f32_e32 v45, v14, v22
	s_waitcnt lgkmcnt(2)
	v_mul_f32_e32 v16, v40, v16
	s_waitcnt lgkmcnt(0)
	v_mul_f32_e32 v22, v44, v22
	v_mul_f32_e32 v18, v38, v18
	v_fmac_f32_e32 v0, v38, v17
	v_fmac_f32_e32 v23, v40, v15
	;; [unrolled: 1-line block ×4, first 2 shown]
	v_mul_f32_e32 v20, v42, v20
	v_fma_f32 v12, v12, v15, -v16
	v_fma_f32 v22, v14, v21, -v22
	;; [unrolled: 1-line block ×3, first 2 shown]
	v_sub_f32_e32 v14, v0, v23
	v_sub_f32_e32 v15, v25, v45
	v_add_f32_e32 v17, v23, v45
	v_fma_f32 v8, v8, v19, -v20
	v_sub_f32_e32 v18, v23, v0
	v_sub_f32_e32 v19, v45, v25
	v_add_f32_e32 v21, v0, v25
	v_add_f32_e32 v38, v23, v36
	;; [unrolled: 1-line block ×3, first 2 shown]
	v_fma_f32 v15, -0.5, v17, v36
	v_sub_f32_e32 v20, v10, v8
	v_sub_f32_e32 v46, v0, v25
	v_add_f32_e32 v48, v18, v19
	v_fma_f32 v17, -0.5, v21, v36
	v_add_f32_e32 v0, v0, v38
	v_mov_b32_e32 v19, v15
	v_sub_f32_e32 v16, v12, v22
	v_fmac_f32_e32 v15, 0x3f737871, v20
	v_mov_b32_e32 v21, v17
	v_add_f32_e32 v0, v25, v0
	v_fmac_f32_e32 v19, 0xbf737871, v20
	v_sub_f32_e32 v23, v23, v45
	v_fmac_f32_e32 v17, 0xbf737871, v16
	v_fmac_f32_e32 v15, 0xbf167918, v16
	;; [unrolled: 1-line block ×3, first 2 shown]
	v_add_f32_e32 v45, v45, v0
	v_fmac_f32_e32 v19, 0x3f167918, v16
	v_sub_f32_e32 v0, v12, v10
	v_sub_f32_e32 v16, v22, v8
	v_add_f32_e32 v0, v0, v16
	v_add_f32_e32 v16, v10, v8
	v_fma_f32 v16, -0.5, v16, v6
	v_fmac_f32_e32 v17, 0xbf167918, v20
	v_fmac_f32_e32 v21, 0x3f167918, v20
	v_mov_b32_e32 v20, v16
	v_add_f32_e32 v44, v12, v22
	v_fmac_f32_e32 v20, 0xbf737871, v23
	v_fmac_f32_e32 v16, 0x3f737871, v23
	v_fma_f32 v14, -0.5, v44, v6
	v_fmac_f32_e32 v20, 0xbf167918, v46
	v_fmac_f32_e32 v16, 0x3f167918, v46
	v_mov_b32_e32 v18, v14
	v_fmac_f32_e32 v20, 0x3e9e377a, v0
	v_fmac_f32_e32 v16, 0x3e9e377a, v0
	v_add_f32_e32 v0, v6, v12
	v_sub_f32_e32 v40, v10, v12
	v_sub_f32_e32 v42, v8, v22
	v_fmac_f32_e32 v14, 0xbf737871, v46
	v_fmac_f32_e32 v18, 0x3f737871, v46
	v_add_f32_e32 v0, v10, v0
	v_add_f32_e32 v36, v40, v42
	v_fmac_f32_e32 v18, 0xbf167918, v23
	v_fmac_f32_e32 v14, 0x3f167918, v23
	v_add_f32_e32 v0, v0, v8
	v_fmac_f32_e32 v18, 0x3e9e377a, v36
	v_fmac_f32_e32 v14, 0x3e9e377a, v36
	v_add_f32_e32 v44, v0, v22
	s_waitcnt vmcnt(0)
	v_mul_f32_e32 v0, v9, v34
	v_mul_f32_e32 v22, v11, v32
	;; [unrolled: 1-line block ×4, first 2 shown]
	v_fmac_f32_e32 v0, v37, v33
	v_fmac_f32_e32 v22, v39, v31
	;; [unrolled: 1-line block ×4, first 2 shown]
	v_sub_f32_e32 v6, v0, v22
	v_sub_f32_e32 v8, v25, v36
	v_add_f32_e32 v6, v6, v8
	v_mul_f32_e32 v8, v39, v32
	v_fma_f32 v31, v11, v31, -v8
	v_mul_f32_e32 v8, v43, v30
	v_mul_f32_e32 v10, v37, v34
	v_fma_f32 v13, v13, v29, -v8
	v_add_f32_e32 v8, v22, v36
	v_fma_f32 v29, v9, v33, -v10
	v_mul_f32_e32 v9, v41, v28
	v_fma_f32 v8, -0.5, v8, v35
	v_fma_f32 v27, v7, v27, -v9
	v_sub_f32_e32 v7, v29, v27
	v_mov_b32_e32 v10, v8
	v_sub_f32_e32 v11, v31, v13
	v_fmac_f32_e32 v10, 0xbf737871, v7
	v_fmac_f32_e32 v8, 0x3f737871, v7
	;; [unrolled: 1-line block ×6, first 2 shown]
	v_sub_f32_e32 v6, v22, v0
	v_sub_f32_e32 v9, v36, v25
	v_add_f32_e32 v6, v6, v9
	v_add_f32_e32 v9, v0, v25
	v_fma_f32 v12, -0.5, v9, v35
	v_mov_b32_e32 v23, v12
	v_fmac_f32_e32 v23, 0x3f737871, v11
	v_fmac_f32_e32 v12, 0xbf737871, v11
	v_fmac_f32_e32 v23, 0x3f167918, v7
	v_fmac_f32_e32 v12, 0xbf167918, v7
	v_sub_f32_e32 v7, v29, v31
	v_sub_f32_e32 v9, v27, v13
	v_add_f32_e32 v11, v7, v9
	v_add_f32_e32 v7, v31, v13
	v_fmac_f32_e32 v23, 0x3e9e377a, v6
	v_fmac_f32_e32 v12, 0x3e9e377a, v6
	v_add_f32_e32 v6, v22, v35
	v_fma_f32 v7, -0.5, v7, v5
	v_add_f32_e32 v6, v0, v6
	v_sub_f32_e32 v0, v0, v25
	v_mov_b32_e32 v9, v7
	v_add_f32_e32 v6, v25, v6
	v_fmac_f32_e32 v9, 0x3f737871, v0
	v_sub_f32_e32 v25, v22, v36
	v_fmac_f32_e32 v7, 0xbf737871, v0
	v_fmac_f32_e32 v9, 0xbf167918, v25
	;; [unrolled: 1-line block ×5, first 2 shown]
	v_sub_f32_e32 v11, v31, v29
	v_sub_f32_e32 v22, v13, v27
	v_add_f32_e32 v28, v11, v22
	v_add_f32_e32 v11, v29, v27
	v_fma_f32 v11, -0.5, v11, v5
	v_mov_b32_e32 v22, v11
	v_fmac_f32_e32 v22, 0xbf737871, v25
	v_fmac_f32_e32 v11, 0x3f737871, v25
	v_mul_hi_u32 v25, v26, s0
	v_fmac_f32_e32 v22, 0xbf167918, v0
	v_fmac_f32_e32 v11, 0x3f167918, v0
	v_add_f32_e32 v0, v5, v31
	v_add_f32_e32 v0, v29, v0
	;; [unrolled: 1-line block ×4, first 2 shown]
	v_lshrrev_b32_e32 v0, 5, v25
	v_mul_u32_u24_e32 v0, 0x1f4, v0
	v_sub_u32_e32 v13, v26, v0
	v_mov_b32_e32 v0, s11
	v_addc_co_u32_e32 v4, vcc, v0, v4, vcc
	v_lshlrev_b64 v[0:1], 3, v[1:2]
	v_add_f32_e32 v6, v36, v6
	v_add_co_u32_e32 v25, vcc, v3, v0
	v_addc_co_u32_e32 v4, vcc, v4, v1, vcc
	v_lshlrev_b32_e32 v0, 3, v13
	v_add_co_u32_e32 v0, vcc, v25, v0
	v_addc_co_u32_e32 v1, vcc, 0, v4, vcc
	v_add_co_u32_e32 v2, vcc, s1, v0
	v_addc_co_u32_e32 v3, vcc, 0, v1, vcc
	s_movk_i32 s1, 0x2000
	v_fmac_f32_e32 v11, 0x3e9e377a, v28
	global_store_dwordx2 v[0:1], v[5:6], off
	global_store_dwordx2 v[0:1], v[11:12], off offset:4000
	global_store_dwordx2 v[2:3], v[7:8], off offset:3904
	v_add_co_u32_e32 v2, vcc, s1, v0
	v_addc_co_u32_e32 v3, vcc, 0, v1, vcc
	global_store_dwordx2 v[2:3], v[9:10], off offset:3808
	v_add_u32_e32 v2, 0xfa, v26
	v_mul_hi_u32 v3, v2, s0
	s_movk_i32 s1, 0x3000
	v_add_co_u32_e32 v0, vcc, s1, v0
	v_fmac_f32_e32 v22, 0x3e9e377a, v28
	v_addc_co_u32_e32 v1, vcc, 0, v1, vcc
	global_store_dwordx2 v[0:1], v[22:23], off offset:3712
	v_lshrrev_b32_e32 v0, 5, v3
	v_mul_u32_u24_e32 v1, 0x1f4, v0
	v_sub_u32_e32 v1, v2, v1
	s_movk_i32 s0, 0x9c4
	v_mad_u32_u24 v23, v0, s0, v1
	v_lshlrev_b64 v[0:1], 3, v[23:24]
	v_fmac_f32_e32 v17, 0x3e9e377a, v48
	v_add_co_u32_e32 v0, vcc, v25, v0
	v_addc_co_u32_e32 v1, vcc, v4, v1, vcc
	global_store_dwordx2 v[0:1], v[44:45], off
	v_add_u32_e32 v0, 0x1f4, v23
	v_mov_b32_e32 v1, v24
	v_lshlrev_b64 v[0:1], 3, v[0:1]
	v_fmac_f32_e32 v15, 0x3e9e377a, v47
	v_add_co_u32_e32 v0, vcc, v25, v0
	v_addc_co_u32_e32 v1, vcc, v4, v1, vcc
	global_store_dwordx2 v[0:1], v[16:17], off
	v_add_u32_e32 v0, 0x3e8, v23
	v_mov_b32_e32 v1, v24
	;; [unrolled: 7-line block ×3, first 2 shown]
	v_lshlrev_b64 v[0:1], 3, v[0:1]
	v_add_u32_e32 v23, 0x7d0, v23
	v_add_co_u32_e32 v0, vcc, v25, v0
	v_addc_co_u32_e32 v1, vcc, v4, v1, vcc
	global_store_dwordx2 v[0:1], v[18:19], off
	v_lshlrev_b64 v[0:1], 3, v[23:24]
	v_fmac_f32_e32 v21, 0x3e9e377a, v48
	v_add_co_u32_e32 v0, vcc, v25, v0
	v_addc_co_u32_e32 v1, vcc, v4, v1, vcc
	global_store_dwordx2 v[0:1], v[20:21], off
.LBB0_15:
	s_endpgm
	.section	.rodata,"a",@progbits
	.p2align	6, 0x0
	.amdhsa_kernel fft_rtc_fwd_len2500_factors_10_5_10_5_wgs_250_tpt_250_halfLds_sp_op_CI_CI_unitstride_sbrr_dirReg
		.amdhsa_group_segment_fixed_size 0
		.amdhsa_private_segment_fixed_size 0
		.amdhsa_kernarg_size 104
		.amdhsa_user_sgpr_count 6
		.amdhsa_user_sgpr_private_segment_buffer 1
		.amdhsa_user_sgpr_dispatch_ptr 0
		.amdhsa_user_sgpr_queue_ptr 0
		.amdhsa_user_sgpr_kernarg_segment_ptr 1
		.amdhsa_user_sgpr_dispatch_id 0
		.amdhsa_user_sgpr_flat_scratch_init 0
		.amdhsa_user_sgpr_private_segment_size 0
		.amdhsa_uses_dynamic_stack 0
		.amdhsa_system_sgpr_private_segment_wavefront_offset 0
		.amdhsa_system_sgpr_workgroup_id_x 1
		.amdhsa_system_sgpr_workgroup_id_y 0
		.amdhsa_system_sgpr_workgroup_id_z 0
		.amdhsa_system_sgpr_workgroup_info 0
		.amdhsa_system_vgpr_workitem_id 0
		.amdhsa_next_free_vgpr 60
		.amdhsa_next_free_sgpr 28
		.amdhsa_reserve_vcc 1
		.amdhsa_reserve_flat_scratch 0
		.amdhsa_float_round_mode_32 0
		.amdhsa_float_round_mode_16_64 0
		.amdhsa_float_denorm_mode_32 3
		.amdhsa_float_denorm_mode_16_64 3
		.amdhsa_dx10_clamp 1
		.amdhsa_ieee_mode 1
		.amdhsa_fp16_overflow 0
		.amdhsa_exception_fp_ieee_invalid_op 0
		.amdhsa_exception_fp_denorm_src 0
		.amdhsa_exception_fp_ieee_div_zero 0
		.amdhsa_exception_fp_ieee_overflow 0
		.amdhsa_exception_fp_ieee_underflow 0
		.amdhsa_exception_fp_ieee_inexact 0
		.amdhsa_exception_int_div_zero 0
	.end_amdhsa_kernel
	.text
.Lfunc_end0:
	.size	fft_rtc_fwd_len2500_factors_10_5_10_5_wgs_250_tpt_250_halfLds_sp_op_CI_CI_unitstride_sbrr_dirReg, .Lfunc_end0-fft_rtc_fwd_len2500_factors_10_5_10_5_wgs_250_tpt_250_halfLds_sp_op_CI_CI_unitstride_sbrr_dirReg
                                        ; -- End function
	.section	.AMDGPU.csdata,"",@progbits
; Kernel info:
; codeLenInByte = 6656
; NumSgprs: 32
; NumVgprs: 60
; ScratchSize: 0
; MemoryBound: 0
; FloatMode: 240
; IeeeMode: 1
; LDSByteSize: 0 bytes/workgroup (compile time only)
; SGPRBlocks: 3
; VGPRBlocks: 14
; NumSGPRsForWavesPerEU: 32
; NumVGPRsForWavesPerEU: 60
; Occupancy: 4
; WaveLimiterHint : 1
; COMPUTE_PGM_RSRC2:SCRATCH_EN: 0
; COMPUTE_PGM_RSRC2:USER_SGPR: 6
; COMPUTE_PGM_RSRC2:TRAP_HANDLER: 0
; COMPUTE_PGM_RSRC2:TGID_X_EN: 1
; COMPUTE_PGM_RSRC2:TGID_Y_EN: 0
; COMPUTE_PGM_RSRC2:TGID_Z_EN: 0
; COMPUTE_PGM_RSRC2:TIDIG_COMP_CNT: 0
	.type	__hip_cuid_9273747682743aaf,@object ; @__hip_cuid_9273747682743aaf
	.section	.bss,"aw",@nobits
	.globl	__hip_cuid_9273747682743aaf
__hip_cuid_9273747682743aaf:
	.byte	0                               ; 0x0
	.size	__hip_cuid_9273747682743aaf, 1

	.ident	"AMD clang version 19.0.0git (https://github.com/RadeonOpenCompute/llvm-project roc-6.4.0 25133 c7fe45cf4b819c5991fe208aaa96edf142730f1d)"
	.section	".note.GNU-stack","",@progbits
	.addrsig
	.addrsig_sym __hip_cuid_9273747682743aaf
	.amdgpu_metadata
---
amdhsa.kernels:
  - .args:
      - .actual_access:  read_only
        .address_space:  global
        .offset:         0
        .size:           8
        .value_kind:     global_buffer
      - .offset:         8
        .size:           8
        .value_kind:     by_value
      - .actual_access:  read_only
        .address_space:  global
        .offset:         16
        .size:           8
        .value_kind:     global_buffer
      - .actual_access:  read_only
        .address_space:  global
        .offset:         24
        .size:           8
        .value_kind:     global_buffer
      - .actual_access:  read_only
        .address_space:  global
        .offset:         32
        .size:           8
        .value_kind:     global_buffer
      - .offset:         40
        .size:           8
        .value_kind:     by_value
      - .actual_access:  read_only
        .address_space:  global
        .offset:         48
        .size:           8
        .value_kind:     global_buffer
      - .actual_access:  read_only
        .address_space:  global
        .offset:         56
        .size:           8
        .value_kind:     global_buffer
      - .offset:         64
        .size:           4
        .value_kind:     by_value
      - .actual_access:  read_only
        .address_space:  global
        .offset:         72
        .size:           8
        .value_kind:     global_buffer
      - .actual_access:  read_only
        .address_space:  global
        .offset:         80
        .size:           8
        .value_kind:     global_buffer
      - .actual_access:  read_only
        .address_space:  global
        .offset:         88
        .size:           8
        .value_kind:     global_buffer
      - .actual_access:  write_only
        .address_space:  global
        .offset:         96
        .size:           8
        .value_kind:     global_buffer
    .group_segment_fixed_size: 0
    .kernarg_segment_align: 8
    .kernarg_segment_size: 104
    .language:       OpenCL C
    .language_version:
      - 2
      - 0
    .max_flat_workgroup_size: 250
    .name:           fft_rtc_fwd_len2500_factors_10_5_10_5_wgs_250_tpt_250_halfLds_sp_op_CI_CI_unitstride_sbrr_dirReg
    .private_segment_fixed_size: 0
    .sgpr_count:     32
    .sgpr_spill_count: 0
    .symbol:         fft_rtc_fwd_len2500_factors_10_5_10_5_wgs_250_tpt_250_halfLds_sp_op_CI_CI_unitstride_sbrr_dirReg.kd
    .uniform_work_group_size: 1
    .uses_dynamic_stack: false
    .vgpr_count:     60
    .vgpr_spill_count: 0
    .wavefront_size: 64
amdhsa.target:   amdgcn-amd-amdhsa--gfx906
amdhsa.version:
  - 1
  - 2
...

	.end_amdgpu_metadata
